;; amdgpu-corpus repo=ROCm/rocFFT kind=compiled arch=gfx1030 opt=O3
	.text
	.amdgcn_target "amdgcn-amd-amdhsa--gfx1030"
	.amdhsa_code_object_version 6
	.protected	fft_rtc_back_len1694_factors_11_2_11_7_wgs_154_tpt_154_halfLds_half_op_CI_CI_sbrr_dirReg ; -- Begin function fft_rtc_back_len1694_factors_11_2_11_7_wgs_154_tpt_154_halfLds_half_op_CI_CI_sbrr_dirReg
	.globl	fft_rtc_back_len1694_factors_11_2_11_7_wgs_154_tpt_154_halfLds_half_op_CI_CI_sbrr_dirReg
	.p2align	8
	.type	fft_rtc_back_len1694_factors_11_2_11_7_wgs_154_tpt_154_halfLds_half_op_CI_CI_sbrr_dirReg,@function
fft_rtc_back_len1694_factors_11_2_11_7_wgs_154_tpt_154_halfLds_half_op_CI_CI_sbrr_dirReg: ; @fft_rtc_back_len1694_factors_11_2_11_7_wgs_154_tpt_154_halfLds_half_op_CI_CI_sbrr_dirReg
; %bb.0:
	s_clause 0x2
	s_load_dwordx4 s[16:19], s[4:5], 0x18
	s_load_dwordx4 s[8:11], s[4:5], 0x0
	;; [unrolled: 1-line block ×3, first 2 shown]
	v_mul_u32_u24_e32 v1, 0x1aa, v0
	v_mov_b32_e32 v7, 0
	v_mov_b32_e32 v5, 0
	;; [unrolled: 1-line block ×3, first 2 shown]
	s_waitcnt lgkmcnt(0)
	s_load_dwordx2 s[20:21], s[16:17], 0x0
	s_load_dwordx2 s[2:3], s[18:19], 0x0
	v_cmp_lt_u64_e64 s0, s[10:11], 2
	v_add_nc_u32_sdwa v9, s6, v1 dst_sel:DWORD dst_unused:UNUSED_PAD src0_sel:DWORD src1_sel:WORD_1
	v_mov_b32_e32 v10, v7
	s_and_b32 vcc_lo, exec_lo, s0
	s_cbranch_vccnz .LBB0_8
; %bb.1:
	s_load_dwordx2 s[0:1], s[4:5], 0x10
	v_mov_b32_e32 v5, 0
	v_mov_b32_e32 v6, 0
	s_add_u32 s6, s18, 8
	s_addc_u32 s7, s19, 0
	v_mov_b32_e32 v1, v5
	s_add_u32 s22, s16, 8
	v_mov_b32_e32 v2, v6
	s_addc_u32 s23, s17, 0
	s_mov_b64 s[26:27], 1
	s_waitcnt lgkmcnt(0)
	s_add_u32 s24, s0, 8
	s_addc_u32 s25, s1, 0
.LBB0_2:                                ; =>This Inner Loop Header: Depth=1
	s_load_dwordx2 s[28:29], s[24:25], 0x0
                                        ; implicit-def: $vgpr3_vgpr4
	s_mov_b32 s0, exec_lo
	s_waitcnt lgkmcnt(0)
	v_or_b32_e32 v8, s29, v10
	v_cmpx_ne_u64_e32 0, v[7:8]
	s_xor_b32 s1, exec_lo, s0
	s_cbranch_execz .LBB0_4
; %bb.3:                                ;   in Loop: Header=BB0_2 Depth=1
	v_cvt_f32_u32_e32 v3, s28
	v_cvt_f32_u32_e32 v4, s29
	s_sub_u32 s0, 0, s28
	s_subb_u32 s30, 0, s29
	v_fmac_f32_e32 v3, 0x4f800000, v4
	v_rcp_f32_e32 v3, v3
	v_mul_f32_e32 v3, 0x5f7ffffc, v3
	v_mul_f32_e32 v4, 0x2f800000, v3
	v_trunc_f32_e32 v4, v4
	v_fmac_f32_e32 v3, 0xcf800000, v4
	v_cvt_u32_f32_e32 v4, v4
	v_cvt_u32_f32_e32 v3, v3
	v_mul_lo_u32 v8, s0, v4
	v_mul_hi_u32 v11, s0, v3
	v_mul_lo_u32 v12, s30, v3
	v_add_nc_u32_e32 v8, v11, v8
	v_mul_lo_u32 v11, s0, v3
	v_add_nc_u32_e32 v8, v8, v12
	v_mul_hi_u32 v12, v3, v11
	v_mul_lo_u32 v13, v3, v8
	v_mul_hi_u32 v14, v3, v8
	v_mul_hi_u32 v15, v4, v11
	v_mul_lo_u32 v11, v4, v11
	v_mul_hi_u32 v16, v4, v8
	v_mul_lo_u32 v8, v4, v8
	v_add_co_u32 v12, vcc_lo, v12, v13
	v_add_co_ci_u32_e32 v13, vcc_lo, 0, v14, vcc_lo
	v_add_co_u32 v11, vcc_lo, v12, v11
	v_add_co_ci_u32_e32 v11, vcc_lo, v13, v15, vcc_lo
	v_add_co_ci_u32_e32 v12, vcc_lo, 0, v16, vcc_lo
	v_add_co_u32 v8, vcc_lo, v11, v8
	v_add_co_ci_u32_e32 v11, vcc_lo, 0, v12, vcc_lo
	v_add_co_u32 v3, vcc_lo, v3, v8
	v_add_co_ci_u32_e32 v4, vcc_lo, v4, v11, vcc_lo
	v_mul_hi_u32 v8, s0, v3
	v_mul_lo_u32 v12, s30, v3
	v_mul_lo_u32 v11, s0, v4
	v_add_nc_u32_e32 v8, v8, v11
	v_mul_lo_u32 v11, s0, v3
	v_add_nc_u32_e32 v8, v8, v12
	v_mul_hi_u32 v12, v3, v11
	v_mul_lo_u32 v13, v3, v8
	v_mul_hi_u32 v14, v3, v8
	v_mul_hi_u32 v15, v4, v11
	v_mul_lo_u32 v11, v4, v11
	v_mul_hi_u32 v16, v4, v8
	v_mul_lo_u32 v8, v4, v8
	v_add_co_u32 v12, vcc_lo, v12, v13
	v_add_co_ci_u32_e32 v13, vcc_lo, 0, v14, vcc_lo
	v_add_co_u32 v11, vcc_lo, v12, v11
	v_add_co_ci_u32_e32 v11, vcc_lo, v13, v15, vcc_lo
	v_add_co_ci_u32_e32 v12, vcc_lo, 0, v16, vcc_lo
	v_add_co_u32 v8, vcc_lo, v11, v8
	v_add_co_ci_u32_e32 v11, vcc_lo, 0, v12, vcc_lo
	v_add_co_u32 v8, vcc_lo, v3, v8
	v_add_co_ci_u32_e32 v13, vcc_lo, v4, v11, vcc_lo
	v_mul_hi_u32 v15, v9, v8
	v_mad_u64_u32 v[11:12], null, v10, v8, 0
	v_mad_u64_u32 v[3:4], null, v9, v13, 0
	v_mad_u64_u32 v[13:14], null, v10, v13, 0
	v_add_co_u32 v3, vcc_lo, v15, v3
	v_add_co_ci_u32_e32 v4, vcc_lo, 0, v4, vcc_lo
	v_add_co_u32 v3, vcc_lo, v3, v11
	v_add_co_ci_u32_e32 v3, vcc_lo, v4, v12, vcc_lo
	v_add_co_ci_u32_e32 v4, vcc_lo, 0, v14, vcc_lo
	v_add_co_u32 v8, vcc_lo, v3, v13
	v_add_co_ci_u32_e32 v11, vcc_lo, 0, v4, vcc_lo
	v_mul_lo_u32 v12, s29, v8
	v_mad_u64_u32 v[3:4], null, s28, v8, 0
	v_mul_lo_u32 v13, s28, v11
	v_sub_co_u32 v3, vcc_lo, v9, v3
	v_add3_u32 v4, v4, v13, v12
	v_sub_nc_u32_e32 v12, v10, v4
	v_subrev_co_ci_u32_e64 v12, s0, s29, v12, vcc_lo
	v_add_co_u32 v13, s0, v8, 2
	v_add_co_ci_u32_e64 v14, s0, 0, v11, s0
	v_sub_co_u32 v15, s0, v3, s28
	v_sub_co_ci_u32_e32 v4, vcc_lo, v10, v4, vcc_lo
	v_subrev_co_ci_u32_e64 v12, s0, 0, v12, s0
	v_cmp_le_u32_e32 vcc_lo, s28, v15
	v_cmp_eq_u32_e64 s0, s29, v4
	v_cndmask_b32_e64 v15, 0, -1, vcc_lo
	v_cmp_le_u32_e32 vcc_lo, s29, v12
	v_cndmask_b32_e64 v16, 0, -1, vcc_lo
	v_cmp_le_u32_e32 vcc_lo, s28, v3
	;; [unrolled: 2-line block ×3, first 2 shown]
	v_cndmask_b32_e64 v17, 0, -1, vcc_lo
	v_cmp_eq_u32_e32 vcc_lo, s29, v12
	v_cndmask_b32_e64 v3, v17, v3, s0
	v_cndmask_b32_e32 v12, v16, v15, vcc_lo
	v_add_co_u32 v15, vcc_lo, v8, 1
	v_add_co_ci_u32_e32 v16, vcc_lo, 0, v11, vcc_lo
	v_cmp_ne_u32_e32 vcc_lo, 0, v12
	v_cndmask_b32_e32 v4, v16, v14, vcc_lo
	v_cndmask_b32_e32 v12, v15, v13, vcc_lo
	v_cmp_ne_u32_e32 vcc_lo, 0, v3
	v_cndmask_b32_e32 v4, v11, v4, vcc_lo
	v_cndmask_b32_e32 v3, v8, v12, vcc_lo
.LBB0_4:                                ;   in Loop: Header=BB0_2 Depth=1
	s_andn2_saveexec_b32 s0, s1
	s_cbranch_execz .LBB0_6
; %bb.5:                                ;   in Loop: Header=BB0_2 Depth=1
	v_cvt_f32_u32_e32 v3, s28
	s_sub_i32 s1, 0, s28
	v_rcp_iflag_f32_e32 v3, v3
	v_mul_f32_e32 v3, 0x4f7ffffe, v3
	v_cvt_u32_f32_e32 v3, v3
	v_mul_lo_u32 v4, s1, v3
	v_mul_hi_u32 v4, v3, v4
	v_add_nc_u32_e32 v3, v3, v4
	v_mul_hi_u32 v3, v9, v3
	v_mul_lo_u32 v4, v3, s28
	v_add_nc_u32_e32 v8, 1, v3
	v_sub_nc_u32_e32 v4, v9, v4
	v_subrev_nc_u32_e32 v11, s28, v4
	v_cmp_le_u32_e32 vcc_lo, s28, v4
	v_cndmask_b32_e32 v4, v4, v11, vcc_lo
	v_cndmask_b32_e32 v3, v3, v8, vcc_lo
	v_cmp_le_u32_e32 vcc_lo, s28, v4
	v_add_nc_u32_e32 v8, 1, v3
	v_mov_b32_e32 v4, v7
	v_cndmask_b32_e32 v3, v3, v8, vcc_lo
.LBB0_6:                                ;   in Loop: Header=BB0_2 Depth=1
	s_or_b32 exec_lo, exec_lo, s0
	v_mul_lo_u32 v8, v4, s28
	v_mul_lo_u32 v13, v3, s29
	s_load_dwordx2 s[0:1], s[22:23], 0x0
	v_mad_u64_u32 v[11:12], null, v3, s28, 0
	s_load_dwordx2 s[28:29], s[6:7], 0x0
	s_add_u32 s26, s26, 1
	s_addc_u32 s27, s27, 0
	s_add_u32 s6, s6, 8
	s_addc_u32 s7, s7, 0
	s_add_u32 s22, s22, 8
	v_add3_u32 v8, v12, v13, v8
	v_sub_co_u32 v9, vcc_lo, v9, v11
	s_addc_u32 s23, s23, 0
	s_add_u32 s24, s24, 8
	v_sub_co_ci_u32_e32 v8, vcc_lo, v10, v8, vcc_lo
	s_addc_u32 s25, s25, 0
	s_waitcnt lgkmcnt(0)
	v_mul_lo_u32 v10, s0, v8
	v_mul_lo_u32 v11, s1, v9
	v_mad_u64_u32 v[5:6], null, s0, v9, v[5:6]
	v_mul_lo_u32 v8, s28, v8
	v_mul_lo_u32 v12, s29, v9
	v_mad_u64_u32 v[1:2], null, s28, v9, v[1:2]
	v_cmp_ge_u64_e64 s0, s[26:27], s[10:11]
	v_add3_u32 v6, v11, v6, v10
	v_add3_u32 v2, v12, v2, v8
	s_and_b32 vcc_lo, exec_lo, s0
	s_cbranch_vccnz .LBB0_9
; %bb.7:                                ;   in Loop: Header=BB0_2 Depth=1
	v_mov_b32_e32 v10, v4
	v_mov_b32_e32 v9, v3
	s_branch .LBB0_2
.LBB0_8:
	v_mov_b32_e32 v1, v5
	v_mov_b32_e32 v3, v9
	;; [unrolled: 1-line block ×4, first 2 shown]
.LBB0_9:
	s_load_dwordx2 s[0:1], s[4:5], 0x28
	v_mul_hi_u32 v9, 0x1a98ef7, v0
	s_lshl_b64 s[6:7], s[10:11], 3
                                        ; implicit-def: $sgpr10
                                        ; implicit-def: $vgpr7
                                        ; implicit-def: $vgpr8
                                        ; implicit-def: $vgpr10
                                        ; implicit-def: $vgpr11
                                        ; implicit-def: $vgpr12
                                        ; implicit-def: $vgpr13
	s_add_u32 s4, s18, s6
	s_addc_u32 s5, s19, s7
	s_waitcnt lgkmcnt(0)
	v_cmp_gt_u64_e32 vcc_lo, s[0:1], v[3:4]
	v_cmp_le_u64_e64 s0, s[0:1], v[3:4]
	s_and_saveexec_b32 s1, s0
	s_xor_b32 s0, exec_lo, s1
; %bb.10:
	v_mul_u32_u24_e32 v5, 0x9a, v9
	s_mov_b32 s10, 0
                                        ; implicit-def: $vgpr9
	v_sub_nc_u32_e32 v7, v0, v5
                                        ; implicit-def: $vgpr0
                                        ; implicit-def: $vgpr5_vgpr6
	v_add_nc_u32_e32 v8, 0x9a, v7
	v_add_nc_u32_e32 v10, 0x134, v7
	;; [unrolled: 1-line block ×5, first 2 shown]
; %bb.11:
	s_or_saveexec_b32 s1, s0
	v_mov_b32_e32 v18, s10
                                        ; implicit-def: $vgpr47
                                        ; implicit-def: $vgpr44
                                        ; implicit-def: $vgpr45
                                        ; implicit-def: $vgpr41
                                        ; implicit-def: $vgpr42
                                        ; implicit-def: $vgpr40
                                        ; implicit-def: $vgpr39
                                        ; implicit-def: $vgpr37
                                        ; implicit-def: $vgpr38
                                        ; implicit-def: $vgpr19
                                        ; implicit-def: $vgpr36
                                        ; implicit-def: $vgpr20
                                        ; implicit-def: $vgpr35
                                        ; implicit-def: $vgpr43
                                        ; implicit-def: $vgpr34
                                        ; implicit-def: $vgpr46
                                        ; implicit-def: $vgpr32
                                        ; implicit-def: $vgpr48
                                        ; implicit-def: $vgpr30
                                        ; implicit-def: $vgpr49
	s_xor_b32 exec_lo, exec_lo, s1
	s_cbranch_execz .LBB0_13
; %bb.12:
	s_add_u32 s6, s16, s6
	s_addc_u32 s7, s17, s7
	v_mul_u32_u24_e32 v7, 0x9a, v9
	s_load_dwordx2 s[6:7], s[6:7], 0x0
	v_lshlrev_b64 v[5:6], 2, v[5:6]
	v_sub_nc_u32_e32 v7, v0, v7
	v_mad_u64_u32 v[13:14], null, s20, v7, 0
	v_add_nc_u32_e32 v8, 0x9a, v7
	v_add_nc_u32_e32 v10, 0x134, v7
	;; [unrolled: 1-line block ×5, first 2 shown]
	v_mad_u64_u32 v[15:16], null, s20, v8, 0
	v_mov_b32_e32 v0, v14
	v_mad_u64_u32 v[17:18], null, s20, v10, 0
	s_waitcnt lgkmcnt(0)
	v_mul_lo_u32 v14, s7, v3
	v_mul_lo_u32 v24, s6, v4
	v_mad_u64_u32 v[19:20], null, s6, v3, 0
	v_mad_u64_u32 v[21:22], null, s21, v7, v[0:1]
	v_mov_b32_e32 v0, v16
	v_mov_b32_e32 v9, v18
	v_mad_u64_u32 v[22:23], null, s20, v11, 0
	v_add3_u32 v20, v20, v24, v14
	v_mad_u64_u32 v[24:25], null, s21, v8, v[0:1]
	v_mov_b32_e32 v14, v21
	v_mad_u64_u32 v[25:26], null, s20, v12, 0
	v_lshlrev_b64 v[18:19], 2, v[19:20]
	v_mad_u64_u32 v[20:21], null, s21, v10, v[9:10]
	v_lshlrev_b64 v[13:14], 2, v[13:14]
	v_mov_b32_e32 v16, v24
	v_mov_b32_e32 v0, v23
	v_add_co_u32 v9, s0, s12, v18
	v_add_co_ci_u32_e64 v19, s0, s13, v19, s0
	v_mov_b32_e32 v18, v20
	v_add_co_u32 v9, s0, v9, v5
	v_add_co_ci_u32_e64 v41, s0, v19, v6, s0
	v_lshlrev_b64 v[5:6], 2, v[15:16]
	v_add_co_u32 v15, s0, v9, v13
	v_add_nc_u32_e32 v13, 0x302, v7
	v_mad_u64_u32 v[19:20], null, s21, v11, v[0:1]
	v_mov_b32_e32 v0, v26
	v_add_co_ci_u32_e64 v16, s0, v41, v14, s0
	v_mad_u64_u32 v[20:21], null, s20, v13, 0
	v_add_nc_u32_e32 v14, 0x39c, v7
	v_mov_b32_e32 v23, v19
	v_mad_u64_u32 v[26:27], null, s21, v12, v[0:1]
	v_lshlrev_b64 v[17:18], 2, v[17:18]
	v_mad_u64_u32 v[27:28], null, s20, v14, 0
	v_mov_b32_e32 v0, v21
	v_add_co_u32 v5, s0, v9, v5
	v_lshlrev_b64 v[21:22], 2, v[22:23]
	v_add_co_ci_u32_e64 v6, s0, v41, v6, s0
	v_mad_u64_u32 v[23:24], null, s21, v13, v[0:1]
	v_add_co_u32 v17, s0, v9, v17
	v_lshlrev_b64 v[24:25], 2, v[25:26]
	v_add_nc_u32_e32 v26, 0x436, v7
	v_add_co_ci_u32_e64 v18, s0, v41, v18, s0
	v_add_co_u32 v29, s0, v9, v21
	v_mov_b32_e32 v0, v28
	v_add_co_ci_u32_e64 v30, s0, v41, v22, s0
	v_mov_b32_e32 v21, v23
	v_mad_u64_u32 v[22:23], null, s20, v26, 0
	v_mad_u64_u32 v[31:32], null, s21, v14, v[0:1]
	;; [unrolled: 1-line block ×3, first 2 shown]
	v_add_nc_u32_e32 v14, 0x56a, v7
	v_lshlrev_b64 v[19:20], 2, v[20:21]
	v_mov_b32_e32 v0, v23
	v_add_co_u32 v24, s0, v9, v24
	v_mov_b32_e32 v28, v31
	v_add_nc_u32_e32 v31, 0x604, v7
	v_mad_u64_u32 v[34:35], null, s21, v26, v[0:1]
	v_mov_b32_e32 v0, v33
	v_mad_u64_u32 v[35:36], null, s20, v14, 0
	v_lshlrev_b64 v[26:27], 2, v[27:28]
	v_add_co_ci_u32_e64 v25, s0, v41, v25, s0
	v_mad_u64_u32 v[37:38], null, s21, v37, v[0:1]
	v_mad_u64_u32 v[38:39], null, s20, v31, 0
	v_mov_b32_e32 v0, v36
	v_mov_b32_e32 v23, v34
	v_add_co_u32 v19, s0, v9, v19
	v_mov_b32_e32 v33, v37
	v_mad_u64_u32 v[36:37], null, s21, v14, v[0:1]
	v_mov_b32_e32 v0, v39
	v_lshlrev_b64 v[21:22], 2, v[22:23]
	v_add_co_ci_u32_e64 v20, s0, v41, v20, s0
	v_add_co_u32 v26, s0, v9, v26
	v_mad_u64_u32 v[39:40], null, s21, v31, v[0:1]
	v_lshlrev_b64 v[31:32], 2, v[32:33]
	v_add_co_ci_u32_e64 v27, s0, v41, v27, s0
	v_add_co_u32 v21, s0, v9, v21
	v_lshlrev_b64 v[33:34], 2, v[35:36]
	v_add_co_ci_u32_e64 v22, s0, v41, v22, s0
	v_add_co_u32 v31, s0, v9, v31
	;; [unrolled: 3-line block ×3, first 2 shown]
	v_add_co_ci_u32_e64 v34, s0, v41, v34, s0
	v_add_co_u32 v35, s0, v9, v35
	v_add_co_ci_u32_e64 v36, s0, v41, v36, s0
	s_clause 0xa
	global_load_dword v44, v[5:6], off
	global_load_dword v41, v[17:18], off
	;; [unrolled: 1-line block ×11, first 2 shown]
	s_waitcnt vmcnt(10)
	v_lshrrev_b32_e32 v47, 16, v44
	s_waitcnt vmcnt(9)
	v_lshrrev_b32_e32 v45, 16, v41
	;; [unrolled: 2-line block ×10, first 2 shown]
.LBB0_13:
	s_or_b32 exec_lo, exec_lo, s1
	v_add_f16_e32 v5, v44, v49
	v_sub_f16_e32 v6, v47, v30
	v_add_f16_e32 v9, v41, v48
	s_waitcnt vmcnt(0)
	v_add_f16_e32 v0, v44, v18
	v_sub_f16_e32 v14, v45, v32
	v_mul_f16_e32 v24, 0xbbad, v5
	v_add_f16_e32 v15, v40, v46
	v_mul_f16_e32 v26, 0x3abb, v9
	v_add_f16_e32 v0, v41, v0
	v_sub_f16_e32 v16, v42, v34
	v_fmamk_f16 v28, v6, 0xb482, v24
	v_add_f16_e32 v17, v37, v43
	v_mul_f16_e32 v27, 0xb93d, v15
	v_fmamk_f16 v33, v14, 0x3853, v26
	v_pk_mul_f16 v50, 0x36a63abb, v5 op_sel_hi:[1,0]
	v_add_f16_e32 v28, v28, v18
	v_sub_f16_e32 v21, v39, v35
	v_add_f16_e32 v0, v40, v0
	v_add_f16_e32 v22, v19, v20
	v_mul_f16_e32 v29, 0x36a6, v17
	v_pk_mul_f16 v51, 0xb93d36a6, v9 op_sel_hi:[1,0]
	v_fmamk_f16 v52, v16, 0xba0c, v27
	v_add_f16_e32 v28, v33, v28
	v_fmamk_f16 v53, v6, 0x3853, v50
	v_pk_fma_f16 v50, 0xbb47b853, v6, v50 op_sel_hi:[1,0,1]
	v_sub_f16_e32 v23, v38, v36
	v_add_f16_e32 v0, v37, v0
	v_mul_f16_e32 v31, 0xb08e, v22
	v_pk_mul_f16 v33, 0xbbadb08e, v15 op_sel_hi:[1,0]
	v_fmamk_f16 v54, v21, 0x3b47, v29
	v_add_f16_e32 v28, v52, v28
	v_fmamk_f16 v52, v14, 0x3b47, v51
	v_add_f16_e32 v53, v53, v18
	v_pk_add_f16 v50, v50, v18 op_sel_hi:[1,0]
	v_pk_fma_f16 v51, 0xba0cbb47, v14, v51 op_sel_hi:[1,0,1]
	v_add_f16_e32 v0, v19, v0
	v_fmamk_f16 v55, v23, 0xbbeb, v31
	v_add_f16_e32 v28, v54, v28
	v_add_f16_e32 v52, v52, v53
	v_fmamk_f16 v53, v16, 0x3beb, v33
	v_pk_mul_f16 v54, 0xb08eb93d, v17 op_sel_hi:[1,0]
	v_pk_add_f16 v50, v51, v50
	v_pk_mul_f16 v51, 0xb93db08e, v5 op_sel_hi:[1,0]
	v_add_f16_e32 v0, v20, v0
	v_pk_fma_f16 v33, 0x3482bbeb, v16, v33 op_sel_hi:[1,0,1]
	v_add_f16_e32 v52, v53, v52
	v_fmamk_f16 v53, v21, 0x3a0c, v54
	v_add_f16_e32 v28, v55, v28
	v_pk_fma_f16 v55, 0xba0cbbeb, v6, v51 op_sel_hi:[1,0,1]
	v_pk_mul_f16 v56, 0xb08ebbad, v9 op_sel_hi:[1,0]
	v_pk_add_f16 v33, v33, v50
	v_add_f16_e32 v50, v53, v52
	v_pk_fma_f16 v52, 0x3bebba0c, v21, v54 op_sel_hi:[1,0,1]
	v_pk_add_f16 v53, v55, v18 op_sel_hi:[1,0]
	v_pk_fma_f16 v54, 0x3beb3482, v14, v56 op_sel_hi:[1,0,1]
	v_pk_mul_f16 v55, 0x3abb36a6, v15 op_sel_hi:[1,0]
	v_add_f16_e32 v0, v43, v0
	v_mul_f16_e32 v25, 0xb482, v6
	v_pk_add_f16 v33, v52, v33
	v_pk_mul_f16 v52, 0xba0cbbeb, v6 op_sel_hi:[1,0]
	v_pk_add_f16 v53, v54, v53
	v_pk_fma_f16 v54, 0xb8533b47, v16, v55 op_sel_hi:[1,0,1]
	v_add_f16_e32 v0, v46, v0
	v_bfi_b32 v24, 0xffff, v24, v51
	v_mul_f16_e32 v51, 0x3853, v14
	v_bfi_b32 v25, 0xffff, v25, v52
	v_pk_add_f16 v53, v54, v53
	v_pk_mul_f16 v54, 0x3beb3482, v14 op_sel_hi:[1,0]
	v_add_f16_e32 v0, v48, v0
	v_pk_mul_f16 v6, 0x3b473beb, v6 op_sel_hi:[1,0]
	v_pk_mul_f16 v52, 0xbbad3abb, v17 op_sel_hi:[1,0]
	v_pk_add_f16 v24, v24, v25 neg_lo:[0,1] neg_hi:[0,1]
	v_bfi_b32 v26, 0xffff, v26, v56
	v_mul_f16_e32 v56, 0xba0c, v16
	v_bfi_b32 v51, 0xffff, v51, v54
	v_add_f16_e32 v57, v49, v0
	v_pk_mul_f16 v0, 0xb8533b47, v16 op_sel_hi:[1,0]
	v_pk_fma_f16 v5, 0x36a6b08e, v5, v6 op_sel_hi:[1,0,1]
	v_pk_mul_f16 v14, 0x3a0cb482, v14 op_sel_hi:[1,0]
	v_pk_fma_f16 v25, 0xb482b853, v21, v52 op_sel_hi:[1,0,1]
	v_mul_f16_e32 v54, 0x3b47, v21
	v_pk_add_f16 v26, v26, v51 neg_lo:[0,1] neg_hi:[0,1]
	v_pk_add_f16 v24, v24, v18 op_sel_hi:[1,0]
	v_bfi_b32 v27, 0xffff, v27, v55
	v_bfi_b32 v55, 0xffff, v56, v0
	v_pk_mul_f16 v6, 0xb482b853, v21 op_sel_hi:[1,0]
	v_pk_add_f16 v5, v5, v18 op_sel_hi:[1,0]
	v_pk_fma_f16 v9, 0xb93dbbad, v9, v14 op_sel_hi:[1,0,1]
	v_pk_mul_f16 v14, 0xb482bb47, v16 op_sel_hi:[1,0]
	v_pk_add_f16 v25, v25, v53
	v_mul_f16_e32 v53, 0xbbeb, v23
	v_pk_mul_f16 v51, 0x3abbbbad, v22 op_sel_hi:[1,0]
	v_pk_add_f16 v24, v26, v24
	v_pk_add_f16 v27, v27, v55 neg_lo:[0,1] neg_hi:[0,1]
	v_pk_mul_f16 v55, 0x36a6b93d, v22 op_sel_hi:[1,0]
	v_bfi_b32 v29, 0xffff, v29, v52
	v_pk_mul_f16 v52, 0x3b47ba0c, v23 op_sel_hi:[1,0]
	v_bfi_b32 v6, 0xffff, v54, v6
	v_pk_add_f16 v5, v9, v5
	v_pk_fma_f16 v9, 0xbbad36a6, v15, v14 op_sel_hi:[1,0,1]
	v_pk_mul_f16 v14, 0xbbeb3853, v21 op_sel_hi:[1,0]
	v_fmamk_f16 v26, v23, 0x3482, v51
	v_pk_fma_f16 v51, 0x3853b482, v23, v51 op_sel_hi:[1,0,1]
	v_pk_fma_f16 v16, 0x3b47ba0c, v23, v55 op_sel_hi:[1,0,1]
	v_pk_add_f16 v24, v27, v24
	v_pk_add_f16 v6, v29, v6 neg_lo:[0,1] neg_hi:[0,1]
	v_bfi_b32 v15, 0xffff, v31, v55
	v_bfi_b32 v21, 0xffff, v53, v52
	v_pk_add_f16 v5, v9, v5
	v_pk_fma_f16 v9, 0xb08e3abb, v17, v14 op_sel_hi:[1,0,1]
	v_pk_mul_f16 v14, 0xb8533a0c, v23 op_sel_hi:[1,0]
	v_pk_add_f16 v6, v6, v24
	v_pk_add_f16 v15, v15, v21 neg_lo:[0,1] neg_hi:[0,1]
	v_pk_add_f16 v21, v16, v25
	v_pk_add_f16 v23, v51, v33
	;; [unrolled: 1-line block ×3, first 2 shown]
	v_pk_fma_f16 v9, 0x3abbb93d, v22, v14 op_sel_hi:[1,0,1]
	v_mad_u32_u24 v0, v7, 22, 0
	v_pk_add_f16 v17, v15, v6
	v_alignbit_b32 v16, v28, v21, 16
	v_alignbit_b32 v15, v21, v23, 16
	v_pack_b32_f16 v14, v57, v23
	v_pk_add_f16 v6, v9, v5
	v_add_f16_e32 v5, v26, v50
	s_load_dwordx2 s[4:5], s[4:5], 0x0
	ds_write_b128 v0, v[14:17]
	ds_write_b32 v0, v6 offset:16
	ds_write_b16 v0, v5 offset:20
	v_mad_i32_i24 v9, 0xffffffec, v7, v0
	v_lshl_add_u32 v6, v8, 1, 0
	v_lshl_add_u32 v15, v10, 1, 0
	v_lshl_add_u32 v14, v11, 1, 0
	s_waitcnt lgkmcnt(0)
	s_barrier
	buffer_gl0_inv
	ds_read_u16 v22, v9 offset:2002
	ds_read_u16 v21, v9 offset:2310
	v_lshl_add_u32 v16, v12, 1, 0
	ds_read_u16 v27, v6
	ds_read_u16 v28, v15
	;; [unrolled: 1-line block ×3, first 2 shown]
	ds_read_u16 v25, v9 offset:1694
	ds_read_u16 v33, v9
	ds_read_u16 v31, v16
	ds_read_u16 v24, v9 offset:2618
	ds_read_u16 v23, v9 offset:2926
	v_mul_i32_i24_e32 v9, 0xffffffec, v7
	v_cmp_gt_u32_e64 s0, 0x4d, v7
	v_lshl_add_u32 v17, v13, 1, 0
                                        ; implicit-def: $vgpr26
	v_add_nc_u32_e32 v9, v0, v9
	s_and_saveexec_b32 s1, s0
	s_cbranch_execz .LBB0_15
; %bb.14:
	ds_read_u16 v5, v17
	ds_read_u16 v26, v9 offset:3234
.LBB0_15:
	s_or_b32 exec_lo, exec_lo, s1
	v_add_f16_sdwa v50, v47, v18 dst_sel:DWORD dst_unused:UNUSED_PAD src0_sel:DWORD src1_sel:WORD_1
	v_sub_f16_e32 v44, v44, v49
	v_add_f16_e32 v49, v45, v32
	v_sub_f16_e32 v41, v41, v48
	v_add_f16_e32 v48, v42, v34
	v_add_f16_e32 v45, v45, v50
	v_sub_f16_e32 v40, v40, v46
	v_add_f16_e32 v46, v39, v35
	v_sub_f16_e32 v37, v37, v43
	v_add_f16_e32 v43, v38, v36
	v_add_f16_e32 v42, v42, v45
	;; [unrolled: 1-line block ×3, first 2 shown]
	v_mul_f16_e32 v50, 0xb482, v44
	v_pk_mul_f16 v55, 0xbb47b853, v44 op_sel_hi:[1,0]
	v_pk_mul_f16 v56, 0xba0cbb47, v41 op_sel_hi:[1,0]
	v_add_f16_e32 v39, v39, v42
	v_mul_f16_e32 v42, 0x3853, v41
	v_fma_f16 v57, v47, 0xbbad, -v50
	v_mul_f16_e32 v53, 0xba0c, v40
	v_fmamk_f16 v60, v49, 0x36a6, v56
	v_add_f16_e32 v38, v38, v39
	v_sub_f16_e32 v19, v19, v20
	v_add_f16_sdwa v57, v57, v18 dst_sel:DWORD dst_unused:UNUSED_PAD src0_sel:DWORD src1_sel:WORD_1
	v_fma_f16 v58, v48, 0xb93d, -v53
	v_mul_f16_e32 v39, 0x3b47, v37
	v_add_f16_e32 v36, v36, v38
	v_fma_f16 v38, v49, 0x3abb, -v42
	v_mul_f16_e32 v45, 0xbbad, v47
	v_mul_f16_e32 v51, 0x3abb, v49
	v_fma_f16 v59, v46, 0x36a6, -v39
	v_add_f16_e32 v35, v35, v36
	v_fmamk_f16 v36, v47, 0x3abb, v55
	v_pk_fma_f16 v55, 0x36a63abb, v47, v55 op_sel_hi:[1,0,1] neg_lo:[0,0,1] neg_hi:[0,0,1]
	v_add_f16_e32 v38, v38, v57
	v_pk_mul_f16 v57, 0x3abbbbad, v43 op_sel_hi:[1,0]
	v_add_f16_e32 v34, v34, v35
	v_pk_fma_f16 v35, 0xb93d36a6, v49, v56 op_sel_hi:[1,0,1] neg_lo:[0,0,1] neg_hi:[0,0,1]
	v_add_f16_sdwa v36, v36, v18 dst_sel:DWORD dst_unused:UNUSED_PAD src0_sel:DWORD src1_sel:WORD_1
	v_pk_add_f16 v55, v55, v18 op_sel:[0,1]
	v_add_f16_e32 v38, v58, v38
	v_add_f16_e32 v32, v32, v34
	v_pk_mul_f16 v34, 0x3482bbeb, v40 op_sel_hi:[1,0]
	v_add_f16_e32 v36, v60, v36
	v_pk_add_f16 v35, v35, v55
	v_pk_mul_f16 v55, 0x3bebba0c, v37 op_sel_hi:[1,0]
	v_add_f16_e32 v32, v30, v32
	v_fmamk_f16 v30, v48, 0xb08e, v34
	v_pk_fma_f16 v34, 0xbbadb08e, v48, v34 op_sel_hi:[1,0,1] neg_lo:[0,0,1] neg_hi:[0,0,1]
	v_pk_mul_f16 v56, 0xba0cbbeb, v44 op_sel_hi:[1,0]
	v_pk_mul_f16 v58, 0x3853b482, v19 op_sel_hi:[1,0]
	v_add_f16_e32 v38, v59, v38
	v_add_f16_e32 v20, v30, v36
	v_pk_add_f16 v30, v34, v35
	v_fmamk_f16 v34, v46, 0xb93d, v55
	v_pk_fma_f16 v55, 0xb08eb93d, v46, v55 op_sel_hi:[1,0,1] neg_lo:[0,0,1] neg_hi:[0,0,1]
	v_pk_fma_f16 v35, 0xb93db08e, v47, v56 op_sel_hi:[1,0,1] neg_lo:[0,0,1] neg_hi:[0,0,1]
	v_pk_mul_f16 v36, 0x3beb3482, v41 op_sel_hi:[1,0]
	v_pk_mul_f16 v44, 0xbb47bbeb, v44 op_sel_hi:[1,0]
	v_add_f16_e32 v20, v34, v20
	v_pk_add_f16 v34, v55, v30
	v_add_f16_e32 v30, v57, v58
	v_pk_add_f16 v35, v35, v18 op_sel:[0,1]
	v_pk_fma_f16 v59, 0xb08ebbad, v49, v36 op_sel_hi:[1,0,1] neg_lo:[0,0,1] neg_hi:[0,0,1]
	v_pk_fma_f16 v44, 0x36a6b08e, v47, v44 op_sel_hi:[1,0,1]
	v_pk_mul_f16 v41, 0xba0c3482, v41 op_sel_hi:[1,0]
	v_add_f16_e32 v30, v30, v20
	v_pk_mul_f16 v20, 0xb93db08e, v47 op_sel_hi:[1,0]
	v_pk_add_f16 v35, v59, v35
	v_pk_mul_f16 v59, 0xb08ebbad, v49 op_sel_hi:[1,0]
	v_mul_f16_e32 v52, 0xb93d, v48
	v_pk_mul_f16 v60, 0xb8533b47, v40 op_sel_hi:[1,0]
	v_bfi_b32 v20, 0xffff, v45, v20
	v_bfi_b32 v45, 0xffff, v50, v56
	v_pk_mul_f16 v61, 0x3abb36a6, v48 op_sel_hi:[1,0]
	v_pk_add_f16 v44, v44, v18 op_sel:[0,1]
	v_pk_fma_f16 v41, 0xb93dbbad, v49, v41 op_sel_hi:[1,0,1]
	v_pk_mul_f16 v40, 0x34823b47, v40 op_sel_hi:[1,0]
	v_pk_add_f16 v20, v20, v45
	v_bfi_b32 v45, 0xffff, v51, v59
	v_bfi_b32 v36, 0xffff, v42, v36
	v_mul_f16_e32 v54, 0x36a6, v46
	v_pk_fma_f16 v55, 0x3abb36a6, v48, v60 op_sel_hi:[1,0,1] neg_lo:[0,0,1] neg_hi:[0,0,1]
	v_pk_mul_f16 v57, 0xb482b853, v37 op_sel_hi:[1,0]
	v_pk_mul_f16 v62, 0xbbad3abb, v46 op_sel_hi:[1,0]
	v_pk_add_f16 v41, v41, v44
	v_pk_fma_f16 v40, 0xbbad36a6, v48, v40 op_sel_hi:[1,0,1]
	v_pk_add_f16 v18, v20, v18 op_sel:[0,1]
	v_pk_add_f16 v20, v45, v36
	v_bfi_b32 v36, 0xffff, v52, v61
	v_bfi_b32 v44, 0xffff, v53, v60
	v_pk_add_f16 v35, v55, v35
	v_pk_fma_f16 v55, 0xbbad3abb, v46, v57 op_sel_hi:[1,0,1] neg_lo:[0,0,1] neg_hi:[0,0,1]
	v_pk_mul_f16 v47, 0x36a6b93d, v43 op_sel_hi:[1,0]
	v_pk_mul_f16 v42, 0x3b47ba0c, v19 op_sel_hi:[1,0]
	v_pk_add_f16 v40, v40, v41
	v_pk_add_f16 v18, v20, v18
	;; [unrolled: 1-line block ×3, first 2 shown]
	v_bfi_b32 v36, 0xffff, v54, v62
	v_bfi_b32 v39, 0xffff, v39, v57
	v_mul_f16_e32 v41, 0xb08e, v43
	v_mul_f16_e32 v44, 0xbbeb, v19
	v_pk_mul_f16 v37, 0x3bebb853, v37 op_sel_hi:[1,0]
	v_pk_fma_f16 v58, 0x3abbbbad, v43, v58 op_sel_hi:[1,0,1] neg_lo:[0,0,1] neg_hi:[0,0,1]
	v_pk_add_f16 v35, v55, v35
	v_pk_fma_f16 v45, 0x36a6b93d, v43, v42 op_sel_hi:[1,0,1] neg_lo:[0,0,1] neg_hi:[0,0,1]
	v_pk_add_f16 v18, v20, v18
	v_pk_add_f16 v20, v36, v39
	v_bfi_b32 v36, 0xffff, v41, v47
	v_bfi_b32 v39, 0xffff, v44, v42
	v_fma_f16 v41, v43, 0xb08e, -v44
	v_pk_fma_f16 v37, 0xb08e3abb, v46, v37 op_sel_hi:[1,0,1]
	v_pk_mul_f16 v19, 0x3853ba0c, v19 op_sel_hi:[1,0]
	v_pk_add_f16 v35, v45, v35
	v_pk_add_f16 v18, v20, v18
	;; [unrolled: 1-line block ×3, first 2 shown]
	v_add_f16_e32 v36, v41, v38
	v_pk_add_f16 v34, v58, v34
	v_pk_add_f16 v38, v37, v40
	v_pk_fma_f16 v19, 0x3abbb93d, v43, v19 op_sel_hi:[1,0,1]
	v_pk_add_f16 v37, v20, v18
	v_alignbit_b32 v36, v36, v35, 16
	v_alignbit_b32 v35, v35, v34, 16
	v_pack_b32_f16 v34, v32, v34
	v_pk_add_f16 v18, v19, v38
	s_waitcnt lgkmcnt(0)
	s_barrier
	buffer_gl0_inv
	ds_write_b128 v0, v[34:37]
	ds_write_b32 v0, v18 offset:16
	ds_write_b16 v0, v30 offset:20
	s_waitcnt lgkmcnt(0)
	s_barrier
	buffer_gl0_inv
	ds_read_u16 v19, v9 offset:1694
	ds_read_u16 v18, v9 offset:2002
	;; [unrolled: 1-line block ×3, first 2 shown]
	ds_read_u16 v32, v6
	ds_read_u16 v34, v15
	;; [unrolled: 1-line block ×5, first 2 shown]
	ds_read_u16 v38, v9 offset:2618
	ds_read_u16 v39, v9 offset:2926
                                        ; implicit-def: $vgpr40
	s_and_saveexec_b32 s1, s0
	s_cbranch_execz .LBB0_17
; %bb.16:
	ds_read_u16 v30, v17
	ds_read_u16 v40, v9 offset:3234
.LBB0_17:
	s_or_b32 exec_lo, exec_lo, s1
	v_and_b32_e32 v0, 0xff, v7
	v_mov_b32_e32 v42, 0xba2f
	v_mov_b32_e32 v43, 2
	v_mul_lo_u16 v0, 0x75, v0
	v_mul_u32_u24_sdwa v44, v8, v42 dst_sel:DWORD dst_unused:UNUSED_PAD src0_sel:WORD_0 src1_sel:DWORD
	v_mul_u32_u24_sdwa v45, v10, v42 dst_sel:DWORD dst_unused:UNUSED_PAD src0_sel:WORD_0 src1_sel:DWORD
	;; [unrolled: 1-line block ×4, first 2 shown]
	v_lshrrev_b16 v0, 8, v0
	v_mul_u32_u24_sdwa v42, v13, v42 dst_sel:DWORD dst_unused:UNUSED_PAD src0_sel:WORD_0 src1_sel:DWORD
	v_lshrrev_b32_e32 v48, 19, v44
	v_lshrrev_b32_e32 v45, 19, v45
	;; [unrolled: 1-line block ×3, first 2 shown]
	v_sub_nc_u16 v41, v7, v0
	v_lshrrev_b32_e32 v47, 19, v47
	v_lshrrev_b32_e32 v42, 19, v42
	v_mul_lo_u16 v44, v45, 11
	v_mul_lo_u16 v49, v46, 11
	v_lshrrev_b16 v41, 1, v41
	v_mul_lo_u16 v51, v47, 11
	v_mul_lo_u16 v52, v42, 11
	v_sub_nc_u16 v54, v10, v44
	v_sub_nc_u16 v49, v11, v49
	v_and_b32_e32 v41, 0x7f, v41
	v_sub_nc_u16 v51, v12, v51
	v_mul_u32_u24_e32 v45, 44, v45
	v_lshlrev_b32_sdwa v12, v43, v54 dst_sel:DWORD dst_unused:UNUSED_PAD src0_sel:DWORD src1_sel:WORD_0
	v_mul_u32_u24_e32 v56, 44, v46
	v_add_nc_u16 v0, v41, v0
	v_mul_lo_u16 v41, v48, 11
	v_mul_u32_u24_e32 v48, 44, v48
	v_mul_u32_u24_e32 v47, 44, v47
	v_mul_lo_u16 v42, v42, 22
	v_lshrrev_b16 v0, 3, v0
	v_sub_nc_u16 v53, v8, v41
	v_sub_nc_u16 v41, v13, v52
	v_lshlrev_b32_sdwa v13, v43, v49 dst_sel:DWORD dst_unused:UNUSED_PAD src0_sel:DWORD src1_sel:WORD_0
	v_mov_b32_e32 v52, 44
	v_mul_lo_u16 v50, v0, 11
	v_lshlrev_b32_sdwa v10, v43, v53 dst_sel:DWORD dst_unused:UNUSED_PAD src0_sel:DWORD src1_sel:WORD_0
	v_mul_u32_u24_sdwa v0, v0, v52 dst_sel:DWORD dst_unused:UNUSED_PAD src0_sel:WORD_0 src1_sel:DWORD
	v_sub_nc_u16 v55, v7, v50
	v_lshlrev_b32_sdwa v50, v43, v51 dst_sel:DWORD dst_unused:UNUSED_PAD src0_sel:DWORD src1_sel:WORD_0
	v_lshlrev_b32_sdwa v11, v43, v55 dst_sel:DWORD dst_unused:UNUSED_PAD src0_sel:DWORD src1_sel:BYTE_0
	v_lshlrev_b32_sdwa v43, v43, v41 dst_sel:DWORD dst_unused:UNUSED_PAD src0_sel:DWORD src1_sel:WORD_0
	s_clause 0x5
	global_load_dword v44, v11, s[8:9]
	global_load_dword v10, v10, s[8:9]
	;; [unrolled: 1-line block ×6, first 2 shown]
	v_mov_b32_e32 v50, 1
	s_waitcnt vmcnt(0) lgkmcnt(0)
	s_barrier
	buffer_gl0_inv
	v_lshlrev_b32_sdwa v46, v50, v53 dst_sel:DWORD dst_unused:UNUSED_PAD src0_sel:DWORD src1_sel:WORD_0
	v_lshlrev_b32_sdwa v53, v50, v54 dst_sel:DWORD dst_unused:UNUSED_PAD src0_sel:DWORD src1_sel:WORD_0
	;; [unrolled: 1-line block ×4, first 2 shown]
	v_add3_u32 v48, 0, v48, v46
	v_add3_u32 v46, 0, v45, v53
	;; [unrolled: 1-line block ×3, first 2 shown]
	v_lshlrev_b32_sdwa v49, v50, v55 dst_sel:DWORD dst_unused:UNUSED_PAD src0_sel:DWORD src1_sel:BYTE_0
	v_add3_u32 v47, 0, v47, v51
	v_add3_u32 v49, 0, v0, v49
	v_mul_f16_sdwa v0, v19, v44 dst_sel:DWORD dst_unused:UNUSED_PAD src0_sel:DWORD src1_sel:WORD_1
	v_mul_f16_sdwa v51, v18, v10 dst_sel:DWORD dst_unused:UNUSED_PAD src0_sel:DWORD src1_sel:WORD_1
	v_mul_f16_sdwa v52, v20, v11 dst_sel:DWORD dst_unused:UNUSED_PAD src0_sel:DWORD src1_sel:WORD_1
	v_mul_f16_sdwa v53, v38, v12 dst_sel:DWORD dst_unused:UNUSED_PAD src0_sel:DWORD src1_sel:WORD_1
	v_mul_f16_sdwa v54, v39, v13 dst_sel:DWORD dst_unused:UNUSED_PAD src0_sel:DWORD src1_sel:WORD_1
	v_mul_f16_sdwa v55, v40, v43 dst_sel:DWORD dst_unused:UNUSED_PAD src0_sel:DWORD src1_sel:WORD_1
	v_fmac_f16_e32 v0, v25, v44
	v_fmac_f16_e32 v51, v22, v10
	;; [unrolled: 1-line block ×6, first 2 shown]
	v_sub_f16_e32 v56, v33, v0
	v_sub_f16_e32 v51, v27, v51
	;; [unrolled: 1-line block ×6, first 2 shown]
	v_fma_f16 v33, v33, 2.0, -v56
	v_fma_f16 v27, v27, 2.0, -v51
	;; [unrolled: 1-line block ×5, first 2 shown]
	ds_write_b16 v49, v56 offset:22
	ds_write_b16 v49, v33
	ds_write_b16 v48, v27
	ds_write_b16 v48, v51 offset:22
	ds_write_b16 v46, v28
	ds_write_b16 v46, v52 offset:22
	;; [unrolled: 2-line block ×4, first 2 shown]
	s_and_saveexec_b32 s1, s0
	s_cbranch_execz .LBB0_19
; %bb.18:
	v_lshlrev_b32_sdwa v27, v50, v41 dst_sel:DWORD dst_unused:UNUSED_PAD src0_sel:DWORD src1_sel:WORD_0
	v_lshlrev_b32_sdwa v28, v50, v42 dst_sel:DWORD dst_unused:UNUSED_PAD src0_sel:DWORD src1_sel:WORD_0
	v_fma_f16 v5, v5, 2.0, -v0
	v_add3_u32 v27, 0, v27, v28
	ds_write_b16 v27, v5
	ds_write_b16 v27, v0 offset:22
.LBB0_19:
	s_or_b32 exec_lo, exec_lo, s1
	v_mul_f16_sdwa v5, v25, v44 dst_sel:DWORD dst_unused:UNUSED_PAD src0_sel:DWORD src1_sel:WORD_1
	v_mul_f16_sdwa v22, v22, v10 dst_sel:DWORD dst_unused:UNUSED_PAD src0_sel:DWORD src1_sel:WORD_1
	;; [unrolled: 1-line block ×5, first 2 shown]
	v_fma_f16 v5, v19, v44, -v5
	v_mul_f16_sdwa v19, v26, v43 dst_sel:DWORD dst_unused:UNUSED_PAD src0_sel:DWORD src1_sel:WORD_1
	v_fma_f16 v10, v18, v10, -v22
	v_fma_f16 v11, v20, v11, -v21
	;; [unrolled: 1-line block ×5, first 2 shown]
	v_sub_f16_e32 v27, v32, v10
	v_sub_f16_e32 v28, v34, v11
	;; [unrolled: 1-line block ×4, first 2 shown]
	s_waitcnt lgkmcnt(0)
	s_barrier
	buffer_gl0_inv
	ds_read_u16 v22, v6
	ds_read_u16 v21, v15
	;; [unrolled: 1-line block ×3, first 2 shown]
	ds_read_u16 v18, v9 offset:1848
	ds_read_u16 v13, v9 offset:2156
	ds_read_u16 v11, v9 offset:2464
	ds_read_u16 v10, v9
	ds_read_u16 v23, v16
	ds_read_u16 v12, v9 offset:2772
	ds_read_u16 v24, v17
	ds_read_u16 v19, v9 offset:3080
	v_sub_f16_e32 v26, v37, v5
	v_sub_f16_e32 v5, v30, v25
	v_fma_f16 v32, v32, 2.0, -v27
	v_fma_f16 v34, v34, 2.0, -v28
	;; [unrolled: 1-line block ×5, first 2 shown]
	s_waitcnt lgkmcnt(0)
	s_barrier
	buffer_gl0_inv
	ds_write_b16 v49, v33
	ds_write_b16 v49, v26 offset:22
	ds_write_b16 v48, v32
	ds_write_b16 v48, v27 offset:22
	ds_write_b16 v46, v34
	ds_write_b16 v46, v28 offset:22
	ds_write_b16 v45, v35
	ds_write_b16 v45, v29 offset:22
	ds_write_b16 v47, v36
	ds_write_b16 v47, v31 offset:22
	s_and_saveexec_b32 s1, s0
	s_cbranch_execz .LBB0_21
; %bb.20:
	v_mov_b32_e32 v25, 1
	v_fma_f16 v27, v30, 2.0, -v5
	v_lshlrev_b32_sdwa v26, v25, v41 dst_sel:DWORD dst_unused:UNUSED_PAD src0_sel:DWORD src1_sel:WORD_0
	v_lshlrev_b32_sdwa v25, v25, v42 dst_sel:DWORD dst_unused:UNUSED_PAD src0_sel:DWORD src1_sel:WORD_0
	v_add3_u32 v25, 0, v26, v25
	ds_write_b16 v25, v27
	ds_write_b16 v25, v5 offset:22
.LBB0_21:
	s_or_b32 exec_lo, exec_lo, s1
	v_lshrrev_b16 v25, 1, v7
	v_mov_b32_e32 v26, 10
	s_waitcnt lgkmcnt(0)
	s_barrier
	buffer_gl0_inv
	v_and_b32_e32 v25, 0x7f, v25
	v_mov_b32_e32 v30, 0x1e4
	v_cmp_gt_u32_e64 s0, 0x58, v7
	v_mul_lo_u16 v25, 0xbb, v25
	v_lshrrev_b16 v27, 11, v25
	v_mul_lo_u16 v25, v27, 22
	v_sub_nc_u16 v28, v7, v25
	v_mul_u32_u24_sdwa v25, v28, v26 dst_sel:DWORD dst_unused:UNUSED_PAD src0_sel:BYTE_0 src1_sel:DWORD
	v_lshlrev_b32_e32 v25, 2, v25
	s_clause 0x2
	global_load_dwordx4 v[42:45], v25, s[8:9] offset:44
	global_load_dwordx4 v[46:49], v25, s[8:9] offset:60
	global_load_dwordx2 v[25:26], v25, s[8:9] offset:76
	ds_read_u16 v29, v6
	ds_read_u16 v35, v15
	v_mov_b32_e32 v15, 1
	ds_read_u16 v37, v14
	ds_read_u16 v50, v16
	;; [unrolled: 1-line block ×3, first 2 shown]
	v_mul_u32_u24_sdwa v16, v27, v30 dst_sel:DWORD dst_unused:UNUSED_PAD src0_sel:WORD_0 src1_sel:DWORD
	v_lshlrev_b32_sdwa v15, v15, v28 dst_sel:DWORD dst_unused:UNUSED_PAD src0_sel:DWORD src1_sel:BYTE_0
	ds_read_u16 v28, v9 offset:1848
	ds_read_u16 v30, v9 offset:2156
	;; [unrolled: 1-line block ×5, first 2 shown]
	ds_read_u16 v14, v9
	s_waitcnt vmcnt(0) lgkmcnt(0)
	s_barrier
	buffer_gl0_inv
	v_add3_u32 v27, 0, v16, v15
	v_mul_f16_sdwa v38, v29, v42 dst_sel:DWORD dst_unused:UNUSED_PAD src0_sel:DWORD src1_sel:WORD_1
	v_mul_f16_sdwa v40, v22, v42 dst_sel:DWORD dst_unused:UNUSED_PAD src0_sel:DWORD src1_sel:WORD_1
	;; [unrolled: 1-line block ×20, first 2 shown]
	v_fmac_f16_e32 v38, v22, v42
	v_fma_f16 v42, v29, v42, -v40
	v_fma_f16 v40, v35, v43, -v54
	;; [unrolled: 1-line block ×5, first 2 shown]
	v_fmac_f16_e32 v16, v18, v47
	v_fma_f16 v18, v28, v47, -v58
	v_fma_f16 v29, v30, v48, -v59
	v_fmac_f16_e32 v41, v19, v26
	v_fma_f16 v19, v53, v26, -v62
	v_fma_f16 v28, v52, v25, -v61
	;; [unrolled: 1-line block ×3, first 2 shown]
	v_fmac_f16_e32 v34, v21, v43
	v_fmac_f16_e32 v32, v20, v44
	;; [unrolled: 1-line block ×7, first 2 shown]
	v_sub_f16_e32 v12, v42, v19
	v_sub_f16_e32 v20, v40, v28
	;; [unrolled: 1-line block ×5, first 2 shown]
	v_add_f16_e32 v43, v10, v38
	v_add_f16_e32 v11, v38, v41
	;; [unrolled: 1-line block ×6, first 2 shown]
	v_mul_f16_e32 v44, 0xb482, v12
	v_mul_f16_e32 v45, 0x3853, v20
	;; [unrolled: 1-line block ×4, first 2 shown]
	v_pk_mul_f16 v48, 0xb853bb47, v12 op_sel_hi:[1,0]
	v_pk_mul_f16 v49, 0xbb47ba0c, v20 op_sel_hi:[1,0]
	v_pk_mul_f16 v50, 0xbbeb3482, v22 op_sel_hi:[1,0]
	v_pk_mul_f16 v51, 0xba0c3beb, v24 op_sel_hi:[1,0]
	v_pk_mul_f16 v52, 0xb4823853, v26 op_sel_hi:[1,0]
	v_pk_mul_f16 v12, 0xbbebba0c, v12 op_sel_hi:[1,0]
	v_pk_mul_f16 v20, 0x34823beb, v20 op_sel_hi:[1,0]
	v_pk_mul_f16 v22, 0x3b47b853, v22 op_sel_hi:[1,0]
	v_pk_mul_f16 v24, 0xb853b482, v24 op_sel_hi:[1,0]
	v_pk_mul_f16 v53, 0xba0c3b47, v26 op_sel_hi:[1,0]
	v_mul_f16_e32 v26, 0xbbeb, v26
	v_add_f16_e32 v43, v43, v34
	v_fmamk_f16 v54, v11, 0xbbad, v44
	v_fma_f16 v44, v11, 0xbbad, -v44
	v_fmamk_f16 v55, v13, 0x3abb, v45
	v_fma_f16 v45, v13, 0x3abb, -v45
	;; [unrolled: 2-line block ×4, first 2 shown]
	v_pk_fma_f16 v58, 0x3abb36a6, v11, v48 op_sel_hi:[1,0,1]
	v_pk_fma_f16 v48, 0x3abb36a6, v11, v48 op_sel_hi:[1,0,1] neg_lo:[0,0,1] neg_hi:[0,0,1]
	v_pk_fma_f16 v59, 0x36a6b93d, v13, v49 op_sel_hi:[1,0,1]
	v_pk_fma_f16 v49, 0x36a6b93d, v13, v49 op_sel_hi:[1,0,1] neg_lo:[0,0,1] neg_hi:[0,0,1]
	;; [unrolled: 2-line block ×10, first 2 shown]
	v_fmamk_f16 v64, v25, 0xb08e, v26
	v_fma_f16 v25, v25, 0xb08e, -v26
	v_add_f16_e32 v26, v43, v32
	v_add_f16_e32 v43, v10, v54
	v_add_f16_e32 v44, v10, v44
	v_add_f16_sdwa v54, v10, v58 dst_sel:DWORD dst_unused:UNUSED_PAD src0_sel:DWORD src1_sel:WORD_1
	v_add_f16_e32 v58, v10, v58
	v_pk_add_f16 v48, v10, v48 op_sel_hi:[0,1]
	v_add_f16_sdwa v65, v10, v62 dst_sel:DWORD dst_unused:UNUSED_PAD src0_sel:DWORD src1_sel:WORD_1
	v_add_f16_e32 v62, v10, v62
	v_pk_add_f16 v10, v10, v11 op_sel_hi:[0,1]
	v_add_f16_e32 v11, v26, v31
	v_add_f16_e32 v26, v55, v43
	;; [unrolled: 1-line block ×3, first 2 shown]
	v_add_f16_sdwa v44, v59, v54 dst_sel:DWORD dst_unused:UNUSED_PAD src0_sel:WORD_1 src1_sel:DWORD
	v_add_f16_e32 v45, v59, v58
	v_add_f16_e32 v11, v11, v15
	v_pk_add_f16 v48, v49, v48
	v_add_f16_sdwa v49, v12, v65 dst_sel:DWORD dst_unused:UNUSED_PAD src0_sel:WORD_1 src1_sel:DWORD
	v_add_f16_e32 v12, v12, v62
	v_pk_add_f16 v10, v13, v10
	v_add_f16_e32 v11, v11, v16
	v_add_f16_e32 v13, v56, v26
	;; [unrolled: 1-line block ×3, first 2 shown]
	v_add_f16_sdwa v43, v60, v44 dst_sel:DWORD dst_unused:UNUSED_PAD src0_sel:WORD_1 src1_sel:DWORD
	v_add_f16_e32 v44, v60, v45
	v_add_f16_sdwa v46, v20, v49 dst_sel:DWORD dst_unused:UNUSED_PAD src0_sel:WORD_1 src1_sel:DWORD
	v_add_f16_e32 v12, v20, v12
	v_add_f16_e32 v11, v11, v33
	v_pk_add_f16 v10, v21, v10
	v_pk_add_f16 v45, v50, v48
	v_add_f16_e32 v20, v47, v26
	v_add_f16_sdwa v21, v61, v43 dst_sel:DWORD dst_unused:UNUSED_PAD src0_sel:WORD_1 src1_sel:DWORD
	v_add_f16_e32 v26, v61, v44
	v_add_f16_sdwa v44, v22, v46 dst_sel:DWORD dst_unused:UNUSED_PAD src0_sel:WORD_1 src1_sel:DWORD
	v_add_f16_e32 v12, v22, v12
	v_add_f16_e32 v22, v11, v36
	v_pk_add_f16 v10, v23, v10
	v_pk_add_f16 v43, v51, v45
	v_add_f16_e32 v13, v57, v13
	v_add_f16_sdwa v21, v24, v21 dst_sel:DWORD dst_unused:UNUSED_PAD src0_sel:WORD_1 src1_sel:DWORD
	v_add_f16_e32 v22, v22, v39
	v_add_f16_e32 v23, v24, v26
	v_pk_add_f16 v10, v53, v10
	v_add_f16_sdwa v24, v63, v44 dst_sel:DWORD dst_unused:UNUSED_PAD src0_sel:WORD_1 src1_sel:DWORD
	v_pk_add_f16 v11, v52, v43
	v_add_f16_e32 v12, v63, v12
	v_add_f16_e32 v13, v64, v13
	;; [unrolled: 1-line block ×3, first 2 shown]
	ds_write_b16 v27, v21 offset:44
	ds_write_b16 v27, v23 offset:88
	;; [unrolled: 1-line block ×6, first 2 shown]
	v_add_f16_e32 v12, v22, v41
	ds_write_b16 v27, v10 offset:308
	ds_write_b16_d16_hi v27, v10 offset:352
	ds_write_b16 v27, v11 offset:396
	ds_write_b16_d16_hi v27, v11 offset:440
	ds_write_b16 v27, v12
	s_waitcnt lgkmcnt(0)
	s_barrier
	buffer_gl0_inv
	ds_read_u16 v20, v9
	ds_read_u16 v22, v9 offset:484
	ds_read_u16 v21, v9 offset:968
	;; [unrolled: 1-line block ×6, first 2 shown]
                                        ; implicit-def: $vgpr12
                                        ; implicit-def: $vgpr13
	s_and_saveexec_b32 s1, s0
	s_cbranch_execz .LBB0_23
; %bb.22:
	ds_read_u16 v10, v6
	ds_read_u16 v11, v9 offset:1276
	ds_read_u16 v0, v9 offset:2244
	;; [unrolled: 1-line block ×3, first 2 shown]
	s_waitcnt lgkmcnt(3)
	ds_read_u16_d16_hi v10, v9 offset:792
	s_waitcnt lgkmcnt(3)
	ds_read_u16_d16_hi v11, v9 offset:1760
	ds_read_u16 v13, v9 offset:2728
.LBB0_23:
	s_or_b32 exec_lo, exec_lo, s1
	v_add_f16_e32 v43, v14, v42
	v_sub_f16_e32 v34, v34, v39
	v_sub_f16_e32 v31, v31, v33
	v_add_f16_e32 v42, v42, v19
	v_sub_f16_e32 v38, v38, v41
	v_add_f16_e32 v39, v43, v40
	v_add_f16_e32 v41, v40, v28
	;; [unrolled: 1-line block ×3, first 2 shown]
	v_sub_f16_e32 v32, v32, v36
	v_add_f16_e32 v36, v35, v29
	v_add_f16_e32 v33, v39, v37
	v_mul_f16_e32 v37, 0xbbad, v42
	v_mul_f16_e32 v39, 0x3abb, v41
	;; [unrolled: 1-line block ×4, first 2 shown]
	v_add_f16_e32 v33, v33, v35
	v_fmamk_f16 v47, v38, 0x3482, v37
	v_pk_mul_f16 v35, 0xb08e3abb, v42 op_sel_hi:[1,0]
	v_fmac_f16_e32 v37, 0xb482, v38
	v_fmamk_f16 v48, v34, 0xb853, v39
	v_add_f16_e32 v33, v33, v17
	v_add_f16_e32 v47, v14, v47
	v_pk_mul_f16 v45, 0xbbad36a6, v41 op_sel_hi:[1,0]
	v_fmac_f16_e32 v39, 0x3853, v34
	v_fmamk_f16 v49, v32, 0x3a0c, v43
	v_add_f16_e32 v33, v33, v18
	v_add_f16_e32 v37, v14, v37
	;; [unrolled: 1-line block ×3, first 2 shown]
	v_pk_mul_f16 v46, 0x36a6b08e, v40 op_sel_hi:[1,0]
	v_fmac_f16_e32 v43, 0xba0c, v32
	v_add_f16_e32 v29, v33, v29
	v_pk_fma_f16 v33, 0xbbebb853, v38, v35 op_sel_hi:[1,0,1] neg_lo:[0,1,0] neg_hi:[0,1,0]
	v_fmamk_f16 v50, v31, 0xbb47, v44
	v_pk_fma_f16 v35, 0xbbebb853, v38, v35 op_sel_hi:[1,0,1]
	v_add_f16_e32 v37, v39, v37
	v_add_f16_e32 v29, v29, v30
	v_pk_fma_f16 v30, 0x3482bb47, v34, v45 op_sel_hi:[1,0,1] neg_lo:[0,1,0] neg_hi:[0,1,0]
	v_add_f16_e32 v48, v14, v33
	v_add_f16_e32 v39, v49, v47
	;; [unrolled: 1-line block ×4, first 2 shown]
	v_add_f16_sdwa v29, v14, v33 dst_sel:DWORD dst_unused:UNUSED_PAD src0_sel:DWORD src1_sel:WORD_1
	v_pk_add_f16 v33, v14, v35 op_sel_hi:[0,1]
	v_add_f16_e32 v35, v43, v37
	v_add_f16_e32 v37, v50, v39
	;; [unrolled: 1-line block ×4, first 2 shown]
	v_pk_fma_f16 v39, 0x3482bb47, v34, v45 op_sel_hi:[1,0,1]
	v_pk_fma_f16 v43, 0x3b47bbeb, v32, v46 op_sel_hi:[1,0,1] neg_lo:[0,1,0] neg_hi:[0,1,0]
	v_pk_mul_f16 v18, 0x3abbb93d, v36 op_sel_hi:[1,0]
	v_add_f16_sdwa v29, v30, v29 dst_sel:DWORD dst_unused:UNUSED_PAD src0_sel:WORD_1 src1_sel:DWORD
	v_sub_f16_e32 v16, v15, v16
	v_pk_add_f16 v30, v39, v33
	v_add_f16_e32 v28, v43, v28
	v_pk_fma_f16 v33, 0x3b47bbeb, v32, v46 op_sel_hi:[1,0,1]
	v_pk_fma_f16 v39, 0xb853ba0c, v31, v18 op_sel_hi:[1,0,1] neg_lo:[0,1,0] neg_hi:[0,1,0]
	v_pk_mul_f16 v15, 0xb93dbbad, v17 op_sel_hi:[1,0]
	v_add_f16_sdwa v29, v43, v29 dst_sel:DWORD dst_unused:UNUSED_PAD src0_sel:WORD_1 src1_sel:DWORD
	v_pk_fma_f16 v18, 0xb853ba0c, v31, v18 op_sel_hi:[1,0,1]
	v_pk_add_f16 v30, v33, v30
	v_add_f16_e32 v28, v39, v28
	v_pk_fma_f16 v33, 0xba0cb482, v16, v15 op_sel_hi:[1,0,1] neg_lo:[0,1,0] neg_hi:[0,1,0]
	v_pk_mul_f16 v42, 0x36a6b93d, v42 op_sel_hi:[1,0]
	v_add_f16_sdwa v29, v39, v29 dst_sel:DWORD dst_unused:UNUSED_PAD src0_sel:WORD_1 src1_sel:DWORD
	v_pk_add_f16 v18, v18, v30
	v_pk_mul_f16 v39, 0xb93db08e, v41 op_sel_hi:[1,0]
	v_add_f16_e32 v28, v33, v28
	v_pk_fma_f16 v30, 0xbb47ba0c, v38, v42 op_sel_hi:[1,0,1] neg_lo:[0,1,0] neg_hi:[0,1,0]
	v_add_f16_sdwa v29, v33, v29 dst_sel:DWORD dst_unused:UNUSED_PAD src0_sel:WORD_1 src1_sel:DWORD
	v_pk_fma_f16 v33, 0xbb47ba0c, v38, v42 op_sel_hi:[1,0,1]
	v_pk_fma_f16 v41, 0xba0c3beb, v34, v39 op_sel_hi:[1,0,1] neg_lo:[0,1,0] neg_hi:[0,1,0]
	v_pk_mul_f16 v40, 0xbbad3abb, v40 op_sel_hi:[1,0]
	v_add_f16_sdwa v38, v14, v30 dst_sel:DWORD dst_unused:UNUSED_PAD src0_sel:DWORD src1_sel:WORD_1
	v_add_f16_e32 v30, v14, v30
	v_pk_add_f16 v14, v14, v33 op_sel_hi:[0,1]
	v_pk_fma_f16 v33, 0xba0c3beb, v34, v39 op_sel_hi:[1,0,1]
	v_pk_mul_f16 v36, 0xb08ebbad, v36 op_sel_hi:[1,0]
	v_add_f16_sdwa v34, v41, v38 dst_sel:DWORD dst_unused:UNUSED_PAD src0_sel:WORD_1 src1_sel:DWORD
	v_pk_fma_f16 v38, 0x3482b853, v32, v40 op_sel_hi:[1,0,1] neg_lo:[0,1,0] neg_hi:[0,1,0]
	v_pk_fma_f16 v32, 0x3482b853, v32, v40 op_sel_hi:[1,0,1]
	v_pk_add_f16 v14, v33, v14
	v_pk_fma_f16 v15, 0xba0cb482, v16, v15 op_sel_hi:[1,0,1]
	v_add_f16_e32 v30, v41, v30
	v_fmac_f16_e32 v44, 0x3b47, v31
	v_pk_fma_f16 v33, 0x3bebb482, v31, v36 op_sel_hi:[1,0,1] neg_lo:[0,1,0] neg_hi:[0,1,0]
	v_pk_add_f16 v14, v32, v14
	v_pk_mul_f16 v32, 0x3abb36a6, v17 op_sel_hi:[1,0]
	v_pk_fma_f16 v31, 0x3bebb482, v31, v36 op_sel_hi:[1,0,1]
	v_pk_add_f16 v15, v15, v18
	v_add_f16_sdwa v18, v38, v34 dst_sel:DWORD dst_unused:UNUSED_PAD src0_sel:WORD_1 src1_sel:DWORD
	v_add_f16_e32 v30, v38, v30
	v_mul_f16_e32 v17, 0xb08e, v17
	v_pk_add_f16 v14, v31, v14
	v_pk_fma_f16 v31, 0x38533b47, v16, v32 op_sel_hi:[1,0,1]
	v_add_f16_sdwa v18, v33, v18 dst_sel:DWORD dst_unused:UNUSED_PAD src0_sel:WORD_1 src1_sel:DWORD
	v_add_f16_e32 v30, v33, v30
	v_pk_fma_f16 v33, 0x38533b47, v16, v32 op_sel_hi:[1,0,1] neg_lo:[0,1,0] neg_hi:[0,1,0]
	v_fmamk_f16 v32, v16, 0x3beb, v17
	v_add_f16_e32 v35, v44, v35
	v_fmac_f16_e32 v17, 0xbbeb, v16
	v_pk_add_f16 v14, v31, v14
	v_add_f16_sdwa v16, v33, v18 dst_sel:DWORD dst_unused:UNUSED_PAD src0_sel:WORD_1 src1_sel:DWORD
	v_add_f16_e32 v18, v33, v30
	v_add_f16_e32 v30, v32, v37
	;; [unrolled: 1-line block ×3, first 2 shown]
	s_waitcnt lgkmcnt(0)
	s_barrier
	buffer_gl0_inv
	ds_write_b16 v27, v19
	ds_write_b16 v27, v28 offset:44
	ds_write_b16 v27, v16 offset:88
	;; [unrolled: 1-line block ×4, first 2 shown]
	v_lshrrev_b32_e32 v16, 16, v15
	v_lshrrev_b32_e32 v17, 16, v14
	ds_write_b16 v27, v30 offset:220
	ds_write_b16 v27, v31 offset:264
	;; [unrolled: 1-line block ×6, first 2 shown]
	s_waitcnt lgkmcnt(0)
	s_barrier
	buffer_gl0_inv
	ds_read_u16 v27, v9
	ds_read_u16 v29, v9 offset:484
	ds_read_u16 v28, v9 offset:968
	;; [unrolled: 1-line block ×6, first 2 shown]
                                        ; implicit-def: $vgpr19
                                        ; implicit-def: $vgpr18
	s_and_saveexec_b32 s1, s0
	s_cbranch_execz .LBB0_25
; %bb.24:
	ds_read_u16 v14, v6
	ds_read_u16 v16, v9 offset:792
	ds_read_u16 v17, v9 offset:1276
	;; [unrolled: 1-line block ×6, first 2 shown]
.LBB0_25:
	s_or_b32 exec_lo, exec_lo, s1
	s_and_saveexec_b32 s1, vcc_lo
	s_cbranch_execz .LBB0_28
; %bb.26:
	v_mul_u32_u24_e32 v6, 6, v7
	v_mul_lo_u32 v9, s5, v3
	v_mul_lo_u32 v4, s4, v4
	v_mad_u64_u32 v[40:41], null, s4, v3, 0
	v_lshlrev_b32_e32 v6, 2, v6
	v_lshlrev_b64 v[1:2], 2, v[1:2]
	s_clause 0x1
	global_load_dwordx4 v[34:37], v6, s[8:9] offset:924
	global_load_dwordx2 v[38:39], v6, s[8:9] offset:940
	v_lshrrev_b32_e32 v6, 1, v7
	v_add3_u32 v41, v41, v4, v9
	v_mul_hi_u32 v6, 0x43b3d5b, v6
	v_lshlrev_b64 v[40:41], 2, v[40:41]
	v_add_co_u32 v62, s1, s14, v40
	v_lshrrev_b32_e32 v3, 1, v6
	v_add_co_ci_u32_e64 v63, s1, s15, v41, s1
	v_add_co_u32 v1, s1, v62, v1
	v_mul_lo_u32 v4, 0xf2, v3
	v_add_co_ci_u32_e64 v2, s1, v63, v2, s1
	v_add_nc_u32_e32 v3, 0x9a, v7
	v_cmp_gt_u32_e32 vcc_lo, 0xf2, v3
	v_sub_nc_u32_e32 v6, v7, v4
	v_mad_u64_u32 v[40:41], null, s2, v6, 0
	v_add_nc_u32_e32 v56, 0xf2, v6
	v_add_nc_u32_e32 v57, 0x1e4, v6
	;; [unrolled: 1-line block ×6, first 2 shown]
	v_mad_u64_u32 v[42:43], null, s2, v56, 0
	v_mad_u64_u32 v[44:45], null, s2, v57, 0
	;; [unrolled: 1-line block ×4, first 2 shown]
	v_mov_b32_e32 v4, v41
	v_mad_u64_u32 v[50:51], null, s2, v60, 0
	v_mad_u64_u32 v[52:53], null, s2, v61, 0
	s_waitcnt lgkmcnt(2)
	v_mad_u64_u32 v[54:55], null, s3, v6, v[4:5]
	v_mov_b32_e32 v4, v43
	v_mov_b32_e32 v6, v45
	;; [unrolled: 1-line block ×6, first 2 shown]
	v_mad_u64_u32 v[55:56], null, s3, v56, v[4:5]
	v_mad_u64_u32 v[56:57], null, s3, v57, v[6:7]
	;; [unrolled: 1-line block ×6, first 2 shown]
	v_mov_b32_e32 v43, v55
	v_mov_b32_e32 v45, v56
	;; [unrolled: 1-line block ×7, first 2 shown]
	v_lshlrev_b64 v[42:43], 2, v[42:43]
	v_lshlrev_b64 v[40:41], 2, v[40:41]
	v_lshlrev_b64 v[44:45], 2, v[44:45]
	v_lshlrev_b64 v[46:47], 2, v[46:47]
	v_lshlrev_b64 v[48:49], 2, v[48:49]
	v_lshlrev_b64 v[50:51], 2, v[50:51]
	v_lshlrev_b64 v[52:53], 2, v[52:53]
	v_add_co_u32 v40, s1, v1, v40
	v_add_co_ci_u32_e64 v41, s1, v2, v41, s1
	v_add_co_u32 v42, s1, v1, v42
	v_add_co_ci_u32_e64 v43, s1, v2, v43, s1
	;; [unrolled: 2-line block ×7, first 2 shown]
	s_waitcnt vmcnt(1)
	v_lshrrev_b32_e32 v4, 16, v34
	v_lshrrev_b32_e32 v6, 16, v35
	;; [unrolled: 1-line block ×3, first 2 shown]
	v_mul_f16_e32 v55, v22, v34
	s_waitcnt vmcnt(0)
	v_lshrrev_b32_e32 v56, 16, v38
	v_lshrrev_b32_e32 v57, 16, v39
	v_mul_f16_e32 v60, v23, v36
	v_mul_f16_e32 v61, v21, v35
	v_lshrrev_b32_e32 v54, 16, v37
	v_mul_f16_e32 v58, v26, v39
	v_mul_f16_e32 v59, v24, v37
	;; [unrolled: 1-line block ×3, first 2 shown]
	v_fmac_f16_e32 v55, v29, v4
	v_fmac_f16_e32 v60, v30, v9
	;; [unrolled: 1-line block ×3, first 2 shown]
	v_mul_f16_e32 v26, v26, v57
	v_mul_f16_e32 v4, v22, v4
	;; [unrolled: 1-line block ×5, first 2 shown]
	s_waitcnt lgkmcnt(0)
	v_fmac_f16_e32 v58, v33, v57
	v_fmac_f16_e32 v59, v31, v54
	;; [unrolled: 1-line block ×3, first 2 shown]
	v_mul_f16_e32 v22, v24, v54
	v_fma_f16 v26, v33, v39, -v26
	v_fma_f16 v4, v29, v34, -v4
	v_fma_f16 v23, v32, v38, -v23
	v_fma_f16 v6, v28, v35, -v6
	v_sub_f16_e32 v21, v55, v58
	v_sub_f16_e32 v24, v59, v60
	v_sub_f16_e32 v25, v61, v62
	v_fma_f16 v9, v30, v36, -v9
	v_fma_f16 v22, v31, v37, -v22
	v_add_f16_e32 v28, v55, v58
	v_add_f16_e32 v29, v59, v60
	;; [unrolled: 1-line block ×5, first 2 shown]
	v_sub_f16_e32 v32, v24, v25
	v_add_f16_e32 v34, v22, v9
	v_sub_f16_e32 v36, v28, v29
	v_sub_f16_e32 v37, v29, v30
	v_add_f16_e32 v38, v28, v30
	v_sub_f16_e32 v4, v4, v26
	v_sub_f16_e32 v9, v22, v9
	;; [unrolled: 1-line block ×5, first 2 shown]
	v_add_f16_e32 v28, v33, v35
	v_sub_f16_e32 v31, v21, v24
	v_add_f16_e32 v24, v24, v25
	v_mul_f16_e32 v25, 0x3846, v32
	v_sub_f16_e32 v26, v34, v35
	v_mul_f16_e32 v32, 0x2b26, v37
	v_add_f16_e32 v29, v29, v38
	v_sub_f16_e32 v37, v4, v9
	v_sub_f16_e32 v38, v9, v6
	v_add_f16_e32 v9, v9, v6
	v_mul_f16_e32 v39, 0xbb00, v22
	v_sub_f16_e32 v6, v6, v4
	v_add_f16_e32 v28, v34, v28
	v_add_f16_e32 v21, v21, v24
	v_sub_f16_e32 v24, v33, v34
	v_mul_f16_e32 v30, 0x3a52, v36
	v_sub_f16_e32 v33, v35, v33
	v_fmamk_f16 v35, v31, 0xb574, v25
	v_mul_f16_e32 v26, 0x2b26, v26
	v_fmamk_f16 v34, v36, 0x3a52, v32
	v_add_f16_e32 v20, v20, v29
	v_mul_f16_e32 v36, 0x3846, v38
	v_add_f16_e32 v4, v4, v9
	v_fma_f16 v9, v31, 0x3574, -v39
	v_mul_f16_e32 v31, 0xbb00, v6
	v_fma_f16 v22, v22, 0xbb00, -v25
	v_add_f16_e32 v25, v27, v28
	v_mul_f16_e32 v54, 0x3a52, v24
	v_fma_f16 v30, v23, 0xb9e0, -v30
	v_fma_f16 v23, v23, 0x39e0, -v32
	v_fmac_f16_e32 v35, 0xb70e, v21
	v_fmamk_f16 v24, v24, 0x3a52, v26
	v_fmamk_f16 v27, v29, 0xbcab, v20
	;; [unrolled: 1-line block ×3, first 2 shown]
	v_fmac_f16_e32 v9, 0xb70e, v21
	v_fma_f16 v31, v37, 0x3574, -v31
	v_fmac_f16_e32 v22, 0xb70e, v21
	v_fma_f16 v6, v6, 0xbb00, -v36
	v_fmamk_f16 v21, v28, 0xbcab, v25
	v_fma_f16 v32, v33, 0xb9e0, -v54
	v_fma_f16 v26, v33, 0x39e0, -v26
	v_add_f16_e32 v28, v34, v27
	v_fmac_f16_e32 v29, 0xb70e, v4
	v_fmac_f16_e32 v31, 0xb70e, v4
	;; [unrolled: 1-line block ×3, first 2 shown]
	v_add_f16_e32 v4, v23, v27
	v_pack_b32_f16 v20, v20, v25
	v_add_f16_e32 v23, v24, v21
	v_add_f16_e32 v30, v30, v27
	;; [unrolled: 1-line block ×4, first 2 shown]
	v_sub_f16_e32 v24, v28, v29
	v_add_f16_e32 v28, v29, v28
	global_store_dword v[40:41], v20, off
	v_add_f16_e32 v20, v35, v23
	v_sub_f16_e32 v23, v23, v35
	v_add_f16_e32 v26, v6, v4
	v_sub_f16_e32 v4, v4, v6
	;; [unrolled: 2-line block ×3, first 2 shown]
	v_sub_f16_e32 v27, v30, v31
	v_add_f16_e32 v30, v22, v21
	v_sub_f16_e32 v21, v21, v22
	v_add_f16_e32 v9, v9, v25
	v_pack_b32_f16 v22, v28, v23
	v_pack_b32_f16 v6, v6, v29
	;; [unrolled: 1-line block ×6, first 2 shown]
	global_store_dword v[42:43], v22, off
	global_store_dword v[44:45], v6, off
	;; [unrolled: 1-line block ×6, first 2 shown]
	s_and_b32 exec_lo, exec_lo, vcc_lo
	s_cbranch_execz .LBB0_28
; %bb.27:
	v_add_nc_u32_e32 v4, 0xffffffa8, v7
	v_mov_b32_e32 v9, 0
	v_mad_u64_u32 v[24:25], null, s2, v3, 0
	v_add_nc_u32_e32 v36, 0x18c, v7
	v_cndmask_b32_e64 v4, v4, v8, s0
	v_add_nc_u32_e32 v37, 0x27e, v7
	v_add_nc_u32_e32 v38, 0x370, v7
	;; [unrolled: 1-line block ×4, first 2 shown]
	v_mul_i32_i24_e32 v8, 6, v4
	v_add_nc_u32_e32 v42, 0x646, v7
	v_mad_u64_u32 v[6:7], null, s2, v36, 0
	v_mov_b32_e32 v4, v25
	v_lshlrev_b64 v[8:9], 2, v[8:9]
	v_mad_u64_u32 v[26:27], null, s2, v37, 0
	v_mad_u64_u32 v[28:29], null, s2, v38, 0
	;; [unrolled: 1-line block ×3, first 2 shown]
	v_add_co_u32 v8, vcc_lo, s8, v8
	v_add_co_ci_u32_e32 v9, vcc_lo, s9, v9, vcc_lo
	v_mad_u64_u32 v[32:33], null, s2, v40, 0
	s_clause 0x1
	global_load_dwordx4 v[20:23], v[8:9], off offset:924
	global_load_dwordx2 v[8:9], v[8:9], off offset:940
	v_mad_u64_u32 v[34:35], null, s2, v42, 0
	v_mad_u64_u32 v[3:4], null, s3, v3, v[4:5]
	v_mov_b32_e32 v4, v7
	v_mov_b32_e32 v7, v27
	;; [unrolled: 1-line block ×6, first 2 shown]
	v_mad_u64_u32 v[35:36], null, s3, v36, v[4:5]
	v_lshrrev_b32_e32 v41, 16, v10
	s_waitcnt vmcnt(0)
	v_mad_u64_u32 v[36:37], null, s3, v37, v[7:8]
	v_mad_u64_u32 v[37:38], null, s3, v38, v[25:26]
	v_mov_b32_e32 v25, v3
	v_mad_u64_u32 v[3:4], null, s3, v40, v[29:30]
	v_mov_b32_e32 v7, v35
	v_mad_u64_u32 v[38:39], null, s3, v39, v[27:28]
	v_lshlrev_b64 v[24:25], 2, v[24:25]
	v_mov_b32_e32 v27, v36
	v_mov_b32_e32 v29, v37
	;; [unrolled: 1-line block ×3, first 2 shown]
	v_lshlrev_b64 v[3:4], 2, v[6:7]
	v_mad_u64_u32 v[39:40], null, s3, v42, v[31:32]
	v_lshlrev_b64 v[6:7], 2, v[26:27]
	v_add_co_u32 v24, vcc_lo, v1, v24
	v_mov_b32_e32 v31, v38
	v_add_co_ci_u32_e32 v25, vcc_lo, v2, v25, vcc_lo
	v_lshlrev_b64 v[26:27], 2, v[28:29]
	v_add_co_u32 v3, vcc_lo, v1, v3
	v_add_co_ci_u32_e32 v4, vcc_lo, v2, v4, vcc_lo
	v_lshlrev_b64 v[28:29], 2, v[30:31]
	v_add_co_u32 v6, vcc_lo, v1, v6
	v_mov_b32_e32 v35, v39
	v_add_co_ci_u32_e32 v7, vcc_lo, v2, v7, vcc_lo
	v_lshlrev_b64 v[30:31], 2, v[32:33]
	v_add_co_u32 v26, vcc_lo, v1, v26
	v_add_co_ci_u32_e32 v27, vcc_lo, v2, v27, vcc_lo
	v_lshlrev_b64 v[32:33], 2, v[34:35]
	v_add_co_u32 v28, vcc_lo, v1, v28
	v_add_co_ci_u32_e32 v29, vcc_lo, v2, v29, vcc_lo
	v_add_co_u32 v30, vcc_lo, v1, v30
	v_add_co_ci_u32_e32 v31, vcc_lo, v2, v31, vcc_lo
	v_add_co_u32 v1, vcc_lo, v1, v32
	v_lshrrev_b32_e32 v40, 16, v11
	v_add_co_ci_u32_e32 v2, vcc_lo, v2, v33, vcc_lo
	v_mul_f16_sdwa v32, v16, v20 dst_sel:DWORD dst_unused:UNUSED_PAD src0_sel:DWORD src1_sel:WORD_1
	v_mul_f16_sdwa v33, v41, v20 dst_sel:DWORD dst_unused:UNUSED_PAD src0_sel:DWORD src1_sel:WORD_1
	;; [unrolled: 1-line block ×12, first 2 shown]
	v_fmac_f16_e32 v32, v41, v20
	v_fma_f16 v16, v16, v20, -v33
	v_fmac_f16_e32 v34, v11, v21
	v_fma_f16 v11, v17, v21, -v35
	v_fmac_f16_e32 v38, v0, v23
	v_fmac_f16_e32 v44, v12, v9
	v_fma_f16 v0, v19, v9, -v45
	v_fmac_f16_e32 v42, v13, v8
	v_fma_f16 v8, v18, v8, -v43
	;; [unrolled: 2-line block ×3, first 2 shown]
	v_fma_f16 v5, v5, v23, -v39
	v_add_f16_e32 v9, v32, v44
	v_add_f16_e32 v12, v16, v0
	v_sub_f16_e32 v0, v16, v0
	v_add_f16_e32 v16, v34, v42
	v_add_f16_e32 v17, v11, v8
	v_sub_f16_e32 v13, v32, v44
	v_sub_f16_e32 v18, v34, v42
	;; [unrolled: 1-line block ×3, first 2 shown]
	v_add_f16_e32 v11, v36, v38
	v_add_f16_e32 v19, v15, v5
	v_sub_f16_e32 v20, v38, v36
	v_sub_f16_e32 v5, v5, v15
	v_add_f16_e32 v15, v16, v9
	v_add_f16_e32 v21, v17, v12
	v_sub_f16_e32 v22, v16, v9
	v_sub_f16_e32 v23, v17, v12
	;; [unrolled: 1-line block ×6, first 2 shown]
	v_add_f16_e32 v32, v20, v18
	v_add_f16_e32 v33, v5, v8
	v_sub_f16_e32 v34, v20, v18
	v_sub_f16_e32 v35, v5, v8
	;; [unrolled: 1-line block ×4, first 2 shown]
	v_add_f16_e32 v11, v11, v15
	v_add_f16_e32 v15, v19, v21
	v_sub_f16_e32 v20, v13, v20
	v_sub_f16_e32 v5, v0, v5
	v_add_f16_e32 v13, v32, v13
	v_add_f16_e32 v0, v33, v0
	v_mul_f16_e32 v9, 0x3a52, v9
	v_mul_f16_e32 v12, 0x3a52, v12
	;; [unrolled: 1-line block ×8, first 2 shown]
	v_add_f16_e32 v10, v10, v11
	v_add_f16_e32 v14, v14, v15
	v_fmamk_f16 v16, v16, 0x2b26, v9
	v_fmamk_f16 v17, v17, 0x2b26, v12
	v_fma_f16 v19, v22, 0x39e0, -v19
	v_fma_f16 v21, v23, 0x39e0, -v21
	;; [unrolled: 1-line block ×4, first 2 shown]
	v_fmamk_f16 v22, v20, 0xb574, v32
	v_fmamk_f16 v23, v5, 0xb574, v33
	v_fma_f16 v18, v18, 0xbb00, -v32
	v_fma_f16 v8, v8, 0xbb00, -v33
	;; [unrolled: 1-line block ×4, first 2 shown]
	v_fmamk_f16 v11, v11, 0xbcab, v10
	v_fmamk_f16 v15, v15, 0xbcab, v14
	v_fmac_f16_e32 v22, 0xb70e, v13
	v_fmac_f16_e32 v23, 0xb70e, v0
	;; [unrolled: 1-line block ×6, first 2 shown]
	v_pack_b32_f16 v0, v10, v14
	v_add_f16_e32 v10, v16, v11
	v_add_f16_e32 v13, v17, v15
	;; [unrolled: 1-line block ×6, first 2 shown]
	global_store_dword v[24:25], v0, off
	v_add_f16_e32 v0, v23, v10
	v_sub_f16_e32 v12, v13, v22
	v_add_f16_e32 v15, v5, v9
	v_sub_f16_e32 v17, v11, v20
	v_sub_f16_e32 v19, v14, v8
	v_add_f16_e32 v21, v18, v16
	v_add_f16_e32 v8, v8, v14
	v_sub_f16_e32 v14, v16, v18
	v_sub_f16_e32 v5, v9, v5
	v_add_f16_e32 v9, v20, v11
	v_sub_f16_e32 v10, v10, v23
	v_add_f16_e32 v11, v22, v13
	v_pack_b32_f16 v0, v0, v12
	v_pack_b32_f16 v12, v15, v17
	;; [unrolled: 1-line block ×6, first 2 shown]
	global_store_dword v[3:4], v0, off
	global_store_dword v[6:7], v12, off
	;; [unrolled: 1-line block ×6, first 2 shown]
.LBB0_28:
	s_endpgm
	.section	.rodata,"a",@progbits
	.p2align	6, 0x0
	.amdhsa_kernel fft_rtc_back_len1694_factors_11_2_11_7_wgs_154_tpt_154_halfLds_half_op_CI_CI_sbrr_dirReg
		.amdhsa_group_segment_fixed_size 0
		.amdhsa_private_segment_fixed_size 0
		.amdhsa_kernarg_size 104
		.amdhsa_user_sgpr_count 6
		.amdhsa_user_sgpr_private_segment_buffer 1
		.amdhsa_user_sgpr_dispatch_ptr 0
		.amdhsa_user_sgpr_queue_ptr 0
		.amdhsa_user_sgpr_kernarg_segment_ptr 1
		.amdhsa_user_sgpr_dispatch_id 0
		.amdhsa_user_sgpr_flat_scratch_init 0
		.amdhsa_user_sgpr_private_segment_size 0
		.amdhsa_wavefront_size32 1
		.amdhsa_uses_dynamic_stack 0
		.amdhsa_system_sgpr_private_segment_wavefront_offset 0
		.amdhsa_system_sgpr_workgroup_id_x 1
		.amdhsa_system_sgpr_workgroup_id_y 0
		.amdhsa_system_sgpr_workgroup_id_z 0
		.amdhsa_system_sgpr_workgroup_info 0
		.amdhsa_system_vgpr_workitem_id 0
		.amdhsa_next_free_vgpr 66
		.amdhsa_next_free_sgpr 31
		.amdhsa_reserve_vcc 1
		.amdhsa_reserve_flat_scratch 0
		.amdhsa_float_round_mode_32 0
		.amdhsa_float_round_mode_16_64 0
		.amdhsa_float_denorm_mode_32 3
		.amdhsa_float_denorm_mode_16_64 3
		.amdhsa_dx10_clamp 1
		.amdhsa_ieee_mode 1
		.amdhsa_fp16_overflow 0
		.amdhsa_workgroup_processor_mode 1
		.amdhsa_memory_ordered 1
		.amdhsa_forward_progress 0
		.amdhsa_shared_vgpr_count 0
		.amdhsa_exception_fp_ieee_invalid_op 0
		.amdhsa_exception_fp_denorm_src 0
		.amdhsa_exception_fp_ieee_div_zero 0
		.amdhsa_exception_fp_ieee_overflow 0
		.amdhsa_exception_fp_ieee_underflow 0
		.amdhsa_exception_fp_ieee_inexact 0
		.amdhsa_exception_int_div_zero 0
	.end_amdhsa_kernel
	.text
.Lfunc_end0:
	.size	fft_rtc_back_len1694_factors_11_2_11_7_wgs_154_tpt_154_halfLds_half_op_CI_CI_sbrr_dirReg, .Lfunc_end0-fft_rtc_back_len1694_factors_11_2_11_7_wgs_154_tpt_154_halfLds_half_op_CI_CI_sbrr_dirReg
                                        ; -- End function
	.section	.AMDGPU.csdata,"",@progbits
; Kernel info:
; codeLenInByte = 10976
; NumSgprs: 33
; NumVgprs: 66
; ScratchSize: 0
; MemoryBound: 0
; FloatMode: 240
; IeeeMode: 1
; LDSByteSize: 0 bytes/workgroup (compile time only)
; SGPRBlocks: 4
; VGPRBlocks: 8
; NumSGPRsForWavesPerEU: 33
; NumVGPRsForWavesPerEU: 66
; Occupancy: 12
; WaveLimiterHint : 1
; COMPUTE_PGM_RSRC2:SCRATCH_EN: 0
; COMPUTE_PGM_RSRC2:USER_SGPR: 6
; COMPUTE_PGM_RSRC2:TRAP_HANDLER: 0
; COMPUTE_PGM_RSRC2:TGID_X_EN: 1
; COMPUTE_PGM_RSRC2:TGID_Y_EN: 0
; COMPUTE_PGM_RSRC2:TGID_Z_EN: 0
; COMPUTE_PGM_RSRC2:TIDIG_COMP_CNT: 0
	.text
	.p2alignl 6, 3214868480
	.fill 48, 4, 3214868480
	.type	__hip_cuid_8a5538d8719fccc9,@object ; @__hip_cuid_8a5538d8719fccc9
	.section	.bss,"aw",@nobits
	.globl	__hip_cuid_8a5538d8719fccc9
__hip_cuid_8a5538d8719fccc9:
	.byte	0                               ; 0x0
	.size	__hip_cuid_8a5538d8719fccc9, 1

	.ident	"AMD clang version 19.0.0git (https://github.com/RadeonOpenCompute/llvm-project roc-6.4.0 25133 c7fe45cf4b819c5991fe208aaa96edf142730f1d)"
	.section	".note.GNU-stack","",@progbits
	.addrsig
	.addrsig_sym __hip_cuid_8a5538d8719fccc9
	.amdgpu_metadata
---
amdhsa.kernels:
  - .args:
      - .actual_access:  read_only
        .address_space:  global
        .offset:         0
        .size:           8
        .value_kind:     global_buffer
      - .offset:         8
        .size:           8
        .value_kind:     by_value
      - .actual_access:  read_only
        .address_space:  global
        .offset:         16
        .size:           8
        .value_kind:     global_buffer
      - .actual_access:  read_only
        .address_space:  global
        .offset:         24
        .size:           8
        .value_kind:     global_buffer
      - .actual_access:  read_only
        .address_space:  global
        .offset:         32
        .size:           8
        .value_kind:     global_buffer
      - .offset:         40
        .size:           8
        .value_kind:     by_value
      - .actual_access:  read_only
        .address_space:  global
        .offset:         48
        .size:           8
        .value_kind:     global_buffer
      - .actual_access:  read_only
        .address_space:  global
        .offset:         56
        .size:           8
        .value_kind:     global_buffer
      - .offset:         64
        .size:           4
        .value_kind:     by_value
      - .actual_access:  read_only
        .address_space:  global
        .offset:         72
        .size:           8
        .value_kind:     global_buffer
      - .actual_access:  read_only
        .address_space:  global
        .offset:         80
        .size:           8
        .value_kind:     global_buffer
      - .actual_access:  read_only
        .address_space:  global
        .offset:         88
        .size:           8
        .value_kind:     global_buffer
      - .actual_access:  write_only
        .address_space:  global
        .offset:         96
        .size:           8
        .value_kind:     global_buffer
    .group_segment_fixed_size: 0
    .kernarg_segment_align: 8
    .kernarg_segment_size: 104
    .language:       OpenCL C
    .language_version:
      - 2
      - 0
    .max_flat_workgroup_size: 154
    .name:           fft_rtc_back_len1694_factors_11_2_11_7_wgs_154_tpt_154_halfLds_half_op_CI_CI_sbrr_dirReg
    .private_segment_fixed_size: 0
    .sgpr_count:     33
    .sgpr_spill_count: 0
    .symbol:         fft_rtc_back_len1694_factors_11_2_11_7_wgs_154_tpt_154_halfLds_half_op_CI_CI_sbrr_dirReg.kd
    .uniform_work_group_size: 1
    .uses_dynamic_stack: false
    .vgpr_count:     66
    .vgpr_spill_count: 0
    .wavefront_size: 32
    .workgroup_processor_mode: 1
amdhsa.target:   amdgcn-amd-amdhsa--gfx1030
amdhsa.version:
  - 1
  - 2
...

	.end_amdgpu_metadata
